;; amdgpu-corpus repo=ROCm/rocFFT kind=compiled arch=gfx906 opt=O3
	.text
	.amdgcn_target "amdgcn-amd-amdhsa--gfx906"
	.amdhsa_code_object_version 6
	.protected	fft_rtc_fwd_len1792_factors_4_4_4_4_7_wgs_224_tpt_224_halfLds_dp_ip_CI_sbrr_dirReg ; -- Begin function fft_rtc_fwd_len1792_factors_4_4_4_4_7_wgs_224_tpt_224_halfLds_dp_ip_CI_sbrr_dirReg
	.globl	fft_rtc_fwd_len1792_factors_4_4_4_4_7_wgs_224_tpt_224_halfLds_dp_ip_CI_sbrr_dirReg
	.p2align	8
	.type	fft_rtc_fwd_len1792_factors_4_4_4_4_7_wgs_224_tpt_224_halfLds_dp_ip_CI_sbrr_dirReg,@function
fft_rtc_fwd_len1792_factors_4_4_4_4_7_wgs_224_tpt_224_halfLds_dp_ip_CI_sbrr_dirReg: ; @fft_rtc_fwd_len1792_factors_4_4_4_4_7_wgs_224_tpt_224_halfLds_dp_ip_CI_sbrr_dirReg
; %bb.0:
	s_load_dwordx2 s[14:15], s[4:5], 0x18
	s_load_dwordx4 s[8:11], s[4:5], 0x0
	s_load_dwordx2 s[12:13], s[4:5], 0x50
	v_mul_u32_u24_e32 v1, 0x125, v0
	v_add_u32_sdwa v5, s6, v1 dst_sel:DWORD dst_unused:UNUSED_PAD src0_sel:DWORD src1_sel:WORD_1
	s_waitcnt lgkmcnt(0)
	s_load_dwordx2 s[2:3], s[14:15], 0x0
	v_cmp_lt_u64_e64 s[0:1], s[10:11], 2
	v_mov_b32_e32 v3, 0
	v_mov_b32_e32 v1, 0
	;; [unrolled: 1-line block ×3, first 2 shown]
	s_and_b64 vcc, exec, s[0:1]
	v_mov_b32_e32 v2, 0
	s_cbranch_vccnz .LBB0_8
; %bb.1:
	s_load_dwordx2 s[0:1], s[4:5], 0x10
	s_add_u32 s6, s14, 8
	s_addc_u32 s7, s15, 0
	v_mov_b32_e32 v1, 0
	v_mov_b32_e32 v2, 0
	s_waitcnt lgkmcnt(0)
	s_add_u32 s16, s0, 8
	s_addc_u32 s17, s1, 0
	s_mov_b64 s[18:19], 1
.LBB0_2:                                ; =>This Inner Loop Header: Depth=1
	s_load_dwordx2 s[20:21], s[16:17], 0x0
                                        ; implicit-def: $vgpr7_vgpr8
	s_waitcnt lgkmcnt(0)
	v_or_b32_e32 v4, s21, v6
	v_cmp_ne_u64_e32 vcc, 0, v[3:4]
	s_and_saveexec_b64 s[0:1], vcc
	s_xor_b64 s[22:23], exec, s[0:1]
	s_cbranch_execz .LBB0_4
; %bb.3:                                ;   in Loop: Header=BB0_2 Depth=1
	v_cvt_f32_u32_e32 v4, s20
	v_cvt_f32_u32_e32 v7, s21
	s_sub_u32 s0, 0, s20
	s_subb_u32 s1, 0, s21
	v_mac_f32_e32 v4, 0x4f800000, v7
	v_rcp_f32_e32 v4, v4
	v_mul_f32_e32 v4, 0x5f7ffffc, v4
	v_mul_f32_e32 v7, 0x2f800000, v4
	v_trunc_f32_e32 v7, v7
	v_mac_f32_e32 v4, 0xcf800000, v7
	v_cvt_u32_f32_e32 v7, v7
	v_cvt_u32_f32_e32 v4, v4
	v_mul_lo_u32 v8, s0, v7
	v_mul_hi_u32 v9, s0, v4
	v_mul_lo_u32 v11, s1, v4
	v_mul_lo_u32 v10, s0, v4
	v_add_u32_e32 v8, v9, v8
	v_add_u32_e32 v8, v8, v11
	v_mul_hi_u32 v9, v4, v10
	v_mul_lo_u32 v11, v4, v8
	v_mul_hi_u32 v13, v4, v8
	v_mul_hi_u32 v12, v7, v10
	v_mul_lo_u32 v10, v7, v10
	v_mul_hi_u32 v14, v7, v8
	v_add_co_u32_e32 v9, vcc, v9, v11
	v_addc_co_u32_e32 v11, vcc, 0, v13, vcc
	v_mul_lo_u32 v8, v7, v8
	v_add_co_u32_e32 v9, vcc, v9, v10
	v_addc_co_u32_e32 v9, vcc, v11, v12, vcc
	v_addc_co_u32_e32 v10, vcc, 0, v14, vcc
	v_add_co_u32_e32 v8, vcc, v9, v8
	v_addc_co_u32_e32 v9, vcc, 0, v10, vcc
	v_add_co_u32_e32 v4, vcc, v4, v8
	v_addc_co_u32_e32 v7, vcc, v7, v9, vcc
	v_mul_lo_u32 v8, s0, v7
	v_mul_hi_u32 v9, s0, v4
	v_mul_lo_u32 v10, s1, v4
	v_mul_lo_u32 v11, s0, v4
	v_add_u32_e32 v8, v9, v8
	v_add_u32_e32 v8, v8, v10
	v_mul_lo_u32 v12, v4, v8
	v_mul_hi_u32 v13, v4, v11
	v_mul_hi_u32 v14, v4, v8
	;; [unrolled: 1-line block ×3, first 2 shown]
	v_mul_lo_u32 v11, v7, v11
	v_mul_hi_u32 v9, v7, v8
	v_add_co_u32_e32 v12, vcc, v13, v12
	v_addc_co_u32_e32 v13, vcc, 0, v14, vcc
	v_mul_lo_u32 v8, v7, v8
	v_add_co_u32_e32 v11, vcc, v12, v11
	v_addc_co_u32_e32 v10, vcc, v13, v10, vcc
	v_addc_co_u32_e32 v9, vcc, 0, v9, vcc
	v_add_co_u32_e32 v8, vcc, v10, v8
	v_addc_co_u32_e32 v9, vcc, 0, v9, vcc
	v_add_co_u32_e32 v4, vcc, v4, v8
	v_addc_co_u32_e32 v9, vcc, v7, v9, vcc
	v_mad_u64_u32 v[7:8], s[0:1], v5, v9, 0
	v_mul_hi_u32 v10, v5, v4
	v_add_co_u32_e32 v11, vcc, v10, v7
	v_addc_co_u32_e32 v12, vcc, 0, v8, vcc
	v_mad_u64_u32 v[7:8], s[0:1], v6, v4, 0
	v_mad_u64_u32 v[9:10], s[0:1], v6, v9, 0
	v_add_co_u32_e32 v4, vcc, v11, v7
	v_addc_co_u32_e32 v4, vcc, v12, v8, vcc
	v_addc_co_u32_e32 v7, vcc, 0, v10, vcc
	v_add_co_u32_e32 v4, vcc, v4, v9
	v_addc_co_u32_e32 v9, vcc, 0, v7, vcc
	v_mul_lo_u32 v10, s21, v4
	v_mul_lo_u32 v11, s20, v9
	v_mad_u64_u32 v[7:8], s[0:1], s20, v4, 0
	v_add3_u32 v8, v8, v11, v10
	v_sub_u32_e32 v10, v6, v8
	v_mov_b32_e32 v11, s21
	v_sub_co_u32_e32 v7, vcc, v5, v7
	v_subb_co_u32_e64 v10, s[0:1], v10, v11, vcc
	v_subrev_co_u32_e64 v11, s[0:1], s20, v7
	v_subbrev_co_u32_e64 v10, s[0:1], 0, v10, s[0:1]
	v_cmp_le_u32_e64 s[0:1], s21, v10
	v_cndmask_b32_e64 v12, 0, -1, s[0:1]
	v_cmp_le_u32_e64 s[0:1], s20, v11
	v_cndmask_b32_e64 v11, 0, -1, s[0:1]
	v_cmp_eq_u32_e64 s[0:1], s21, v10
	v_cndmask_b32_e64 v10, v12, v11, s[0:1]
	v_add_co_u32_e64 v11, s[0:1], 2, v4
	v_addc_co_u32_e64 v12, s[0:1], 0, v9, s[0:1]
	v_add_co_u32_e64 v13, s[0:1], 1, v4
	v_addc_co_u32_e64 v14, s[0:1], 0, v9, s[0:1]
	v_subb_co_u32_e32 v8, vcc, v6, v8, vcc
	v_cmp_ne_u32_e64 s[0:1], 0, v10
	v_cmp_le_u32_e32 vcc, s21, v8
	v_cndmask_b32_e64 v10, v14, v12, s[0:1]
	v_cndmask_b32_e64 v12, 0, -1, vcc
	v_cmp_le_u32_e32 vcc, s20, v7
	v_cndmask_b32_e64 v7, 0, -1, vcc
	v_cmp_eq_u32_e32 vcc, s21, v8
	v_cndmask_b32_e32 v7, v12, v7, vcc
	v_cmp_ne_u32_e32 vcc, 0, v7
	v_cndmask_b32_e64 v7, v13, v11, s[0:1]
	v_cndmask_b32_e32 v8, v9, v10, vcc
	v_cndmask_b32_e32 v7, v4, v7, vcc
.LBB0_4:                                ;   in Loop: Header=BB0_2 Depth=1
	s_andn2_saveexec_b64 s[0:1], s[22:23]
	s_cbranch_execz .LBB0_6
; %bb.5:                                ;   in Loop: Header=BB0_2 Depth=1
	v_cvt_f32_u32_e32 v4, s20
	s_sub_i32 s22, 0, s20
	v_rcp_iflag_f32_e32 v4, v4
	v_mul_f32_e32 v4, 0x4f7ffffe, v4
	v_cvt_u32_f32_e32 v4, v4
	v_mul_lo_u32 v7, s22, v4
	v_mul_hi_u32 v7, v4, v7
	v_add_u32_e32 v4, v4, v7
	v_mul_hi_u32 v4, v5, v4
	v_mul_lo_u32 v7, v4, s20
	v_add_u32_e32 v8, 1, v4
	v_sub_u32_e32 v7, v5, v7
	v_subrev_u32_e32 v9, s20, v7
	v_cmp_le_u32_e32 vcc, s20, v7
	v_cndmask_b32_e32 v7, v7, v9, vcc
	v_cndmask_b32_e32 v4, v4, v8, vcc
	v_add_u32_e32 v8, 1, v4
	v_cmp_le_u32_e32 vcc, s20, v7
	v_cndmask_b32_e32 v7, v4, v8, vcc
	v_mov_b32_e32 v8, v3
.LBB0_6:                                ;   in Loop: Header=BB0_2 Depth=1
	s_or_b64 exec, exec, s[0:1]
	v_mul_lo_u32 v4, v8, s20
	v_mul_lo_u32 v11, v7, s21
	v_mad_u64_u32 v[9:10], s[0:1], v7, s20, 0
	s_load_dwordx2 s[0:1], s[6:7], 0x0
	s_add_u32 s18, s18, 1
	v_add3_u32 v4, v10, v11, v4
	v_sub_co_u32_e32 v5, vcc, v5, v9
	v_subb_co_u32_e32 v4, vcc, v6, v4, vcc
	s_waitcnt lgkmcnt(0)
	v_mul_lo_u32 v4, s0, v4
	v_mul_lo_u32 v6, s1, v5
	v_mad_u64_u32 v[1:2], s[0:1], s0, v5, v[1:2]
	s_addc_u32 s19, s19, 0
	s_add_u32 s6, s6, 8
	v_add3_u32 v2, v6, v2, v4
	v_mov_b32_e32 v4, s10
	v_mov_b32_e32 v5, s11
	s_addc_u32 s7, s7, 0
	v_cmp_ge_u64_e32 vcc, s[18:19], v[4:5]
	s_add_u32 s16, s16, 8
	s_addc_u32 s17, s17, 0
	s_cbranch_vccnz .LBB0_9
; %bb.7:                                ;   in Loop: Header=BB0_2 Depth=1
	v_mov_b32_e32 v5, v7
	v_mov_b32_e32 v6, v8
	s_branch .LBB0_2
.LBB0_8:
	v_mov_b32_e32 v8, v6
	v_mov_b32_e32 v7, v5
.LBB0_9:
	s_lshl_b64 s[0:1], s[10:11], 3
	s_add_u32 s0, s14, s0
	s_addc_u32 s1, s15, s1
	s_load_dwordx2 s[6:7], s[0:1], 0x0
	s_load_dwordx2 s[10:11], s[4:5], 0x20
                                        ; implicit-def: $vgpr63
	s_waitcnt lgkmcnt(0)
	v_mad_u64_u32 v[1:2], s[0:1], s6, v7, v[1:2]
	s_mov_b32 s0, 0x124924a
	v_mul_lo_u32 v3, s6, v8
	v_mul_lo_u32 v4, s7, v7
	v_mul_hi_u32 v5, v0, s0
	v_cmp_gt_u64_e32 vcc, s[10:11], v[7:8]
	v_cmp_le_u64_e64 s[0:1], s[10:11], v[7:8]
	v_add3_u32 v2, v4, v2, v3
	v_mul_u32_u24_e32 v3, 0xe0, v5
	v_sub_u32_e32 v62, v0, v3
	s_and_saveexec_b64 s[4:5], s[0:1]
	s_xor_b64 s[0:1], exec, s[4:5]
; %bb.10:
	v_add_u32_e32 v63, 0xe0, v62
; %bb.11:
	s_or_saveexec_b64 s[4:5], s[0:1]
	v_lshlrev_b64 v[52:53], 4, v[1:2]
                                        ; implicit-def: $vgpr14_vgpr15
                                        ; implicit-def: $vgpr22_vgpr23
                                        ; implicit-def: $vgpr2_vgpr3
                                        ; implicit-def: $vgpr10_vgpr11
                                        ; implicit-def: $vgpr30_vgpr31
                                        ; implicit-def: $vgpr6_vgpr7
                                        ; implicit-def: $vgpr26_vgpr27
                                        ; implicit-def: $vgpr18_vgpr19
	s_xor_b64 exec, exec, s[4:5]
	s_cbranch_execz .LBB0_13
; %bb.12:
	v_mad_u64_u32 v[0:1], s[0:1], s2, v62, 0
	v_add_u32_e32 v5, 0x1c0, v62
	v_mov_b32_e32 v4, s13
	v_mad_u64_u32 v[1:2], s[0:1], s3, v62, v[1:2]
	v_mad_u64_u32 v[2:3], s[0:1], s2, v5, 0
	v_add_co_u32_e64 v8, s[0:1], s12, v52
	v_addc_co_u32_e64 v9, s[0:1], v4, v53, s[0:1]
	v_mad_u64_u32 v[3:4], s[0:1], s3, v5, v[3:4]
	v_add_u32_e32 v6, 0x380, v62
	v_mad_u64_u32 v[4:5], s[0:1], s2, v6, 0
	v_lshlrev_b64 v[0:1], 4, v[0:1]
	v_add_u32_e32 v63, 0xe0, v62
	v_add_co_u32_e64 v32, s[0:1], v8, v0
	v_addc_co_u32_e64 v33, s[0:1], v9, v1, s[0:1]
	v_lshlrev_b64 v[0:1], 4, v[2:3]
	v_mov_b32_e32 v2, v5
	v_mad_u64_u32 v[2:3], s[0:1], s3, v6, v[2:3]
	v_add_u32_e32 v3, 0x540, v62
	v_mad_u64_u32 v[6:7], s[0:1], s2, v3, 0
	v_add_co_u32_e64 v34, s[0:1], v8, v0
	v_mov_b32_e32 v5, v2
	v_mov_b32_e32 v2, v7
	v_addc_co_u32_e64 v35, s[0:1], v9, v1, s[0:1]
	v_mad_u64_u32 v[2:3], s[0:1], s3, v3, v[2:3]
	v_lshlrev_b64 v[0:1], 4, v[4:5]
	v_mad_u64_u32 v[3:4], s[0:1], s2, v63, 0
	v_add_co_u32_e64 v36, s[0:1], v8, v0
	v_mov_b32_e32 v7, v2
	v_mov_b32_e32 v2, v4
	v_addc_co_u32_e64 v37, s[0:1], v9, v1, s[0:1]
	v_lshlrev_b64 v[0:1], 4, v[6:7]
	v_mad_u64_u32 v[4:5], s[0:1], s3, v63, v[2:3]
	v_add_u32_e32 v7, 0x2a0, v62
	v_mad_u64_u32 v[5:6], s[0:1], s2, v7, 0
	v_add_co_u32_e64 v38, s[0:1], v8, v0
	v_mov_b32_e32 v2, v6
	v_addc_co_u32_e64 v39, s[0:1], v9, v1, s[0:1]
	v_lshlrev_b64 v[0:1], 4, v[3:4]
	v_mad_u64_u32 v[2:3], s[0:1], s3, v7, v[2:3]
	v_add_u32_e32 v7, 0x460, v62
	v_mad_u64_u32 v[3:4], s[0:1], s2, v7, 0
	v_add_co_u32_e64 v40, s[0:1], v8, v0
	v_mov_b32_e32 v6, v2
	v_mov_b32_e32 v2, v4
	v_addc_co_u32_e64 v41, s[0:1], v9, v1, s[0:1]
	v_lshlrev_b64 v[0:1], 4, v[5:6]
	v_mad_u64_u32 v[4:5], s[0:1], s3, v7, v[2:3]
	v_add_u32_e32 v7, 0x620, v62
	v_mad_u64_u32 v[5:6], s[0:1], s2, v7, 0
	v_add_co_u32_e64 v42, s[0:1], v8, v0
	v_mov_b32_e32 v2, v6
	v_addc_co_u32_e64 v43, s[0:1], v9, v1, s[0:1]
	v_lshlrev_b64 v[0:1], 4, v[3:4]
	v_mad_u64_u32 v[2:3], s[0:1], s3, v7, v[2:3]
	v_add_co_u32_e64 v44, s[0:1], v8, v0
	v_mov_b32_e32 v6, v2
	v_addc_co_u32_e64 v45, s[0:1], v9, v1, s[0:1]
	v_lshlrev_b64 v[0:1], 4, v[5:6]
	v_add_co_u32_e64 v46, s[0:1], v8, v0
	v_addc_co_u32_e64 v47, s[0:1], v9, v1, s[0:1]
	global_load_dwordx4 v[16:19], v[32:33], off
	global_load_dwordx4 v[12:15], v[34:35], off
	;; [unrolled: 1-line block ×8, first 2 shown]
.LBB0_13:
	s_or_b64 exec, exec, s[4:5]
	s_waitcnt vmcnt(0)
	v_add_f64 v[32:33], v[0:1], -v[28:29]
	v_add_f64 v[28:29], v[4:5], -v[8:9]
	;; [unrolled: 1-line block ×8, first 2 shown]
	v_fma_f64 v[0:1], v[0:1], 2.0, -v[32:33]
	v_fma_f64 v[4:5], v[4:5], 2.0, -v[28:29]
	;; [unrolled: 1-line block ×6, first 2 shown]
	v_add_f64 v[14:15], v[20:21], -v[8:9]
	v_add_f64 v[10:11], v[24:25], v[34:35]
	v_fma_f64 v[2:3], v[2:3], 2.0, -v[30:31]
	v_add_f64 v[16:17], v[4:5], -v[0:1]
	v_add_f64 v[18:19], v[28:29], -v[30:31]
	;; [unrolled: 1-line block ×3, first 2 shown]
	v_lshl_add_u32 v64, v62, 5, 0
	v_add_f64 v[8:9], v[38:39], -v[26:27]
	v_fma_f64 v[22:23], v[20:21], 2.0, -v[14:15]
	v_fma_f64 v[30:31], v[34:35], 2.0, -v[10:11]
	v_lshl_add_u32 v0, v63, 5, 0
	v_fma_f64 v[24:25], v[4:5], 2.0, -v[16:17]
	v_fma_f64 v[5:6], v[6:7], 2.0, -v[40:41]
	v_fma_f64 v[20:21], v[36:37], 2.0, -v[12:13]
	ds_write_b128 v64, v[12:15] offset:16
	v_add_f64 v[14:15], v[32:33], v[40:41]
	v_fma_f64 v[26:27], v[28:29], 2.0, -v[18:19]
	v_fma_f64 v[28:29], v[38:39], 2.0, -v[8:9]
	ds_write_b128 v0, v[16:19] offset:16
	ds_write_b128 v64, v[20:23]
	ds_write_b128 v0, v[24:27]
	v_add_f64 v[12:13], v[5:6], -v[2:3]
	v_fma_f64 v[22:23], v[40:41], 2.0, -v[14:15]
	s_movk_i32 s0, 0xffe8
	v_mad_i32_i24 v1, v62, s0, v64
	v_add_u32_e32 v3, 0x1500, v1
	v_mad_i32_i24 v2, v63, s0, v0
	s_waitcnt lgkmcnt(0)
	s_barrier
	v_fma_f64 v[20:21], v[5:6], 2.0, -v[12:13]
	ds_read2st64_b64 v[16:19], v1 offset1:7
	v_add_u32_e32 v4, 0x2300, v1
	ds_read_b64 v[44:45], v2
	ds_read_b64 v[46:47], v1 offset:12544
	ds_read2_b64 v[24:27], v3 offset1:224
	ds_read2_b64 v[32:35], v4 offset1:224
	s_waitcnt lgkmcnt(0)
	s_barrier
	ds_write_b128 v64, v[28:31]
	ds_write_b128 v64, v[8:11] offset:16
	ds_write_b128 v0, v[20:23]
	ds_write_b128 v0, v[12:15] offset:16
	v_and_b32_e32 v15, 3, v62
	v_mul_u32_u24_e32 v5, 3, v15
	v_lshlrev_b32_e32 v5, 4, v5
	s_waitcnt lgkmcnt(0)
	s_barrier
	global_load_dwordx4 v[7:10], v5, s[8:9] offset:32
	global_load_dwordx4 v[11:14], v5, s[8:9] offset:16
	global_load_dwordx4 v[20:23], v5, s[8:9]
	s_movk_i32 s0, 0x3f0
	v_lshlrev_b32_e32 v5, 2, v62
	v_and_or_b32 v28, v5, s0, v15
	v_lshl_add_u32 v75, v28, 3, 0
	ds_read2_b64 v[28:31], v4 offset1:224
	ds_read2_b64 v[36:39], v3 offset1:224
	ds_read_b64 v[48:49], v1 offset:12544
	ds_read2st64_b64 v[40:43], v1 offset1:7
	ds_read_b64 v[50:51], v2
	s_movk_i32 s1, 0x7f0
	v_lshlrev_b32_e32 v6, 2, v63
	v_and_or_b32 v15, v6, s1, v15
	v_lshl_add_u32 v76, v15, 3, 0
	s_waitcnt vmcnt(0) lgkmcnt(0)
	s_barrier
	s_movk_i32 s0, 0x3c0
	s_movk_i32 s1, 0x7c0
	v_and_b32_e32 v79, 63, v63
	v_and_b32_e32 v80, 63, v62
	v_mul_f64 v[54:55], v[48:49], v[9:10]
	v_mul_f64 v[56:57], v[46:47], v[9:10]
	;; [unrolled: 1-line block ×12, first 2 shown]
	v_fma_f64 v[46:47], v[46:47], v[7:8], -v[54:55]
	v_fma_f64 v[48:49], v[48:49], v[7:8], v[56:57]
	v_fma_f64 v[34:35], v[34:35], v[7:8], -v[58:59]
	v_fma_f64 v[7:8], v[30:31], v[7:8], v[9:10]
	v_fma_f64 v[9:10], v[26:27], v[11:12], -v[67:68]
	v_fma_f64 v[18:19], v[18:19], v[20:21], -v[71:72]
	;; [unrolled: 1-line block ×4, first 2 shown]
	v_fma_f64 v[22:23], v[42:43], v[20:21], v[22:23]
	v_fma_f64 v[13:14], v[38:39], v[11:12], v[13:14]
	;; [unrolled: 1-line block ×4, first 2 shown]
	v_add_f64 v[9:10], v[16:17], -v[9:10]
	v_add_f64 v[28:29], v[18:19], -v[34:35]
	;; [unrolled: 1-line block ×8, first 2 shown]
	v_fma_f64 v[15:16], v[16:17], 2.0, -v[9:10]
	v_fma_f64 v[17:18], v[18:19], 2.0, -v[28:29]
	;; [unrolled: 1-line block ×4, first 2 shown]
	v_add_f64 v[36:37], v[9:10], -v[7:8]
	v_fma_f64 v[40:41], v[40:41], 2.0, -v[13:14]
	v_fma_f64 v[7:8], v[22:23], 2.0, -v[7:8]
	;; [unrolled: 1-line block ×4, first 2 shown]
	v_add_f64 v[38:39], v[26:27], -v[32:33]
	v_add_f64 v[17:18], v[15:16], -v[17:18]
	;; [unrolled: 1-line block ×3, first 2 shown]
	v_add_f64 v[28:29], v[13:14], v[28:29]
	v_add_f64 v[30:31], v[11:12], v[30:31]
	v_add_f64 v[32:33], v[40:41], -v[7:8]
	v_fma_f64 v[9:10], v[9:10], 2.0, -v[36:37]
	v_add_f64 v[19:20], v[21:22], -v[19:20]
	v_fma_f64 v[25:26], v[26:27], 2.0, -v[38:39]
	v_fma_f64 v[7:8], v[15:16], 2.0, -v[17:18]
	;; [unrolled: 1-line block ×4, first 2 shown]
	ds_write2_b64 v75, v[17:18], v[36:37] offset0:8 offset1:12
	v_fma_f64 v[36:37], v[40:41], 2.0, -v[32:33]
	v_fma_f64 v[42:43], v[11:12], 2.0, -v[30:31]
	;; [unrolled: 1-line block ×3, first 2 shown]
	ds_write2_b64 v75, v[7:8], v[9:10] offset1:4
	ds_write2_b64 v76, v[15:16], v[25:26] offset1:4
	ds_write2_b64 v76, v[23:24], v[38:39] offset0:8 offset1:12
	s_waitcnt lgkmcnt(0)
	s_barrier
	ds_read2st64_b64 v[7:10], v1 offset1:7
	ds_read_b64 v[44:45], v2
	ds_read_b64 v[46:47], v1 offset:12544
	ds_read2_b64 v[11:14], v3 offset1:224
	ds_read2_b64 v[15:18], v4 offset1:224
	s_waitcnt lgkmcnt(0)
	s_barrier
	ds_write2_b64 v75, v[36:37], v[34:35] offset1:4
	ds_write2_b64 v75, v[32:33], v[28:29] offset0:8 offset1:12
	ds_write2_b64 v76, v[21:22], v[42:43] offset1:4
	ds_write2_b64 v76, v[19:20], v[30:31] offset0:8 offset1:12
	v_and_b32_e32 v31, 15, v62
	v_mul_u32_u24_e32 v19, 3, v31
	v_lshlrev_b32_e32 v32, 4, v19
	s_waitcnt lgkmcnt(0)
	s_barrier
	global_load_dwordx4 v[19:22], v32, s[8:9] offset:224
	global_load_dwordx4 v[23:26], v32, s[8:9] offset:208
	;; [unrolled: 1-line block ×3, first 2 shown]
	v_and_or_b32 v32, v5, s0, v31
	v_and_or_b32 v31, v6, s1, v31
	v_mul_u32_u24_e32 v33, 3, v79
	v_lshl_add_u32 v75, v32, 3, 0
	v_lshl_add_u32 v76, v31, 3, 0
	v_lshlrev_b32_e32 v77, 4, v33
	ds_read2_b64 v[31:34], v4 offset1:224
	ds_read2_b64 v[35:38], v3 offset1:224
	ds_read_b64 v[48:49], v1 offset:12544
	ds_read2st64_b64 v[39:42], v1 offset1:7
	ds_read_b64 v[50:51], v2
	v_mul_u32_u24_e32 v43, 3, v80
	s_waitcnt vmcnt(0) lgkmcnt(0)
	s_barrier
	s_movk_i32 s0, 0x300
	s_movk_i32 s1, 0x700
	v_and_or_b32 v6, v6, s1, v79
	v_mul_f64 v[54:55], v[48:49], v[21:22]
	v_mul_f64 v[56:57], v[46:47], v[21:22]
	;; [unrolled: 1-line block ×12, first 2 shown]
	v_fma_f64 v[46:47], v[46:47], v[19:20], -v[54:55]
	v_fma_f64 v[48:49], v[48:49], v[19:20], v[56:57]
	v_fma_f64 v[17:18], v[17:18], v[19:20], -v[58:59]
	v_fma_f64 v[19:20], v[33:34], v[19:20], v[21:22]
	v_fma_f64 v[13:14], v[13:14], v[23:24], -v[67:68]
	v_fma_f64 v[9:10], v[9:10], v[27:28], -v[71:72]
	;; [unrolled: 1-line block ×4, first 2 shown]
	v_fma_f64 v[21:22], v[41:42], v[27:28], v[29:30]
	v_fma_f64 v[25:26], v[37:38], v[23:24], v[25:26]
	;; [unrolled: 1-line block ×4, first 2 shown]
	v_add_f64 v[13:14], v[7:8], -v[13:14]
	v_add_f64 v[17:18], v[9:10], -v[17:18]
	;; [unrolled: 1-line block ×8, first 2 shown]
	v_fma_f64 v[7:8], v[7:8], 2.0, -v[13:14]
	v_fma_f64 v[9:10], v[9:10], 2.0, -v[17:18]
	v_fma_f64 v[33:34], v[44:45], 2.0, -v[15:16]
	v_fma_f64 v[11:12], v[11:12], 2.0, -v[29:30]
	v_add_f64 v[35:36], v[13:14], -v[19:20]
	v_fma_f64 v[39:40], v[39:40], 2.0, -v[25:26]
	v_fma_f64 v[19:20], v[21:22], 2.0, -v[19:20]
	;; [unrolled: 1-line block ×4, first 2 shown]
	v_add_f64 v[37:38], v[15:16], -v[31:32]
	v_add_f64 v[9:10], v[7:8], -v[9:10]
	;; [unrolled: 1-line block ×3, first 2 shown]
	v_add_f64 v[31:32], v[25:26], v[17:18]
	v_add_f64 v[29:30], v[23:24], v[29:30]
	v_add_f64 v[41:42], v[39:40], -v[19:20]
	v_fma_f64 v[13:14], v[13:14], 2.0, -v[35:36]
	v_add_f64 v[20:21], v[27:28], -v[21:22]
	v_fma_f64 v[15:16], v[15:16], 2.0, -v[37:38]
	v_fma_f64 v[7:8], v[7:8], 2.0, -v[9:10]
	;; [unrolled: 1-line block ×6, first 2 shown]
	ds_write2_b64 v75, v[9:10], v[35:36] offset0:32 offset1:48
	v_fma_f64 v[27:28], v[27:28], 2.0, -v[20:21]
	ds_write2_b64 v75, v[7:8], v[13:14] offset1:16
	ds_write2_b64 v76, v[17:18], v[15:16] offset1:16
	ds_write2_b64 v76, v[11:12], v[37:38] offset0:32 offset1:48
	s_waitcnt lgkmcnt(0)
	s_barrier
	ds_read2st64_b64 v[7:10], v1 offset1:7
	ds_read_b64 v[54:55], v2
	ds_read_b64 v[65:66], v1 offset:12544
	ds_read2_b64 v[16:19], v3 offset1:224
	ds_read2_b64 v[12:15], v4 offset1:224
	s_waitcnt lgkmcnt(0)
	s_barrier
	ds_write2_b64 v75, v[33:34], v[25:26] offset1:16
	ds_write2_b64 v75, v[41:42], v[31:32] offset0:32 offset1:48
	ds_write2_b64 v76, v[27:28], v[22:23] offset1:16
	ds_write2_b64 v76, v[20:21], v[29:30] offset0:32 offset1:48
	s_waitcnt lgkmcnt(0)
	s_barrier
	global_load_dwordx4 v[24:27], v77, s[8:9] offset:992
	v_lshlrev_b32_e32 v11, 4, v43
	global_load_dwordx4 v[28:31], v11, s[8:9] offset:960
	global_load_dwordx4 v[36:39], v11, s[8:9] offset:976
	;; [unrolled: 1-line block ×5, first 2 shown]
	ds_read_b64 v[67:68], v1 offset:12544
	ds_read2st64_b64 v[20:23], v1 offset1:7
	ds_read2_b64 v[44:47], v4 offset1:224
	ds_read2_b64 v[48:51], v3 offset1:224
	ds_read_b64 v[56:57], v2
	s_waitcnt vmcnt(0) lgkmcnt(0)
	s_barrier
	v_mul_i32_i24_e32 v11, 0xffffffe8, v63
	v_mul_f64 v[69:70], v[22:23], v[30:31]
	v_mul_f64 v[71:72], v[50:51], v[38:39]
	v_mul_f64 v[2:3], v[67:68], v[26:27]
	v_mul_f64 v[73:74], v[46:47], v[34:35]
	v_mul_f64 v[75:76], v[44:45], v[42:43]
	v_mul_f64 v[77:78], v[48:49], v[60:61]
	v_mul_f64 v[26:27], v[65:66], v[26:27]
	v_mul_f64 v[30:31], v[9:10], v[30:31]
	v_mul_f64 v[34:35], v[14:15], v[34:35]
	v_fma_f64 v[9:10], v[9:10], v[28:29], -v[69:70]
	v_fma_f64 v[2:3], v[65:66], v[24:25], -v[2:3]
	;; [unrolled: 1-line block ×4, first 2 shown]
	v_mul_f64 v[60:61], v[16:17], v[60:61]
	v_fma_f64 v[69:70], v[12:13], v[40:41], -v[75:76]
	v_fma_f64 v[71:72], v[16:17], v[58:59], -v[77:78]
	v_fma_f64 v[24:25], v[67:68], v[24:25], v[26:27]
	v_fma_f64 v[22:23], v[22:23], v[28:29], v[30:31]
	;; [unrolled: 1-line block ×3, first 2 shown]
	v_add_f64 v[28:29], v[7:8], -v[65:66]
	v_add_f64 v[16:17], v[9:10], -v[14:15]
	v_fma_f64 v[46:47], v[48:49], v[58:59], v[60:61]
	v_add_f64 v[30:31], v[54:55], -v[69:70]
	v_add_f64 v[14:15], v[71:72], -v[2:3]
	v_and_or_b32 v32, v5, s0, v80
	v_lshl_add_u32 v66, v32, 3, 0
	v_add_f64 v[58:59], v[22:23], -v[26:27]
	v_fma_f64 v[2:3], v[7:8], 2.0, -v[28:29]
	v_fma_f64 v[7:8], v[9:10], 2.0, -v[16:17]
	v_add_f64 v[60:61], v[46:47], -v[24:25]
	v_fma_f64 v[9:10], v[54:55], 2.0, -v[30:31]
	v_fma_f64 v[24:25], v[71:72], 2.0, -v[14:15]
	v_lshl_add_u32 v65, v6, 3, 0
	v_add_u32_e32 v67, v0, v11
	v_add_f64 v[26:27], v[28:29], -v[58:59]
	v_cmp_gt_u32_e64 s[0:1], 32, v62
	v_add_f64 v[7:8], v[2:3], -v[7:8]
	v_add_f64 v[48:49], v[30:31], -v[60:61]
	v_mul_i32_i24_e32 v69, 0xffffffe8, v62
	v_add_f64 v[24:25], v[9:10], -v[24:25]
	v_lshl_add_u32 v68, v62, 3, 0
	v_fma_f64 v[4:5], v[28:29], 2.0, -v[26:27]
	v_fma_f64 v[2:3], v[2:3], 2.0, -v[7:8]
	;; [unrolled: 1-line block ×4, first 2 shown]
	ds_write2st64_b64 v66, v[7:8], v[26:27] offset0:2 offset1:3
	ds_write2st64_b64 v66, v[2:3], v[4:5] offset1:1
	ds_write2st64_b64 v65, v[9:10], v[28:29] offset1:1
	ds_write2st64_b64 v65, v[24:25], v[48:49] offset0:2 offset1:3
	s_waitcnt lgkmcnt(0)
	s_barrier
	ds_read_b64 v[54:55], v1 offset:12288
	ds_read2st64_b64 v[24:27], v1 offset1:4
	ds_read2st64_b64 v[32:35], v1 offset0:8 offset1:12
	ds_read2st64_b64 v[28:31], v1 offset0:16 offset1:20
                                        ; implicit-def: $vgpr2_vgpr3
                                        ; implicit-def: $vgpr6_vgpr7
                                        ; implicit-def: $vgpr10_vgpr11
	s_and_saveexec_b64 s[4:5], s[0:1]
	s_cbranch_execz .LBB0_15
; %bb.14:
	v_add_u32_e32 v0, 0x100, v68
	ds_read_b64 v[48:49], v67
	ds_read2st64_b64 v[8:11], v0 offset0:7 offset1:11
	ds_read2st64_b64 v[4:7], v0 offset0:15 offset1:19
	ds_read2st64_b64 v[0:3], v0 offset0:23 offset1:27
.LBB0_15:
	s_or_b64 exec, exec, s[4:5]
	v_mul_f64 v[18:19], v[18:19], v[38:39]
	v_mul_f64 v[12:13], v[12:13], v[42:43]
	v_fma_f64 v[22:23], v[22:23], 2.0, -v[58:59]
	s_waitcnt lgkmcnt(0)
	s_barrier
	v_fma_f64 v[18:19], v[50:51], v[36:37], v[18:19]
	v_fma_f64 v[12:13], v[44:45], v[40:41], v[12:13]
	v_fma_f64 v[36:37], v[46:47], 2.0, -v[60:61]
	v_add_f64 v[18:19], v[20:21], -v[18:19]
	v_add_f64 v[12:13], v[56:57], -v[12:13]
	v_fma_f64 v[20:21], v[20:21], 2.0, -v[18:19]
	v_fma_f64 v[38:39], v[56:57], 2.0, -v[12:13]
	v_add_f64 v[16:17], v[18:19], v[16:17]
	v_add_f64 v[50:51], v[12:13], v[14:15]
	v_add_u32_e32 v56, v64, v69
	v_add_f64 v[14:15], v[20:21], -v[22:23]
	v_add_f64 v[22:23], v[38:39], -v[36:37]
	v_fma_f64 v[18:19], v[18:19], 2.0, -v[16:17]
	v_fma_f64 v[12:13], v[12:13], 2.0, -v[50:51]
	;; [unrolled: 1-line block ×4, first 2 shown]
	ds_write2st64_b64 v66, v[14:15], v[16:17] offset0:2 offset1:3
	ds_write2st64_b64 v66, v[20:21], v[18:19] offset1:1
	ds_write2st64_b64 v65, v[36:37], v[12:13] offset1:1
	ds_write2st64_b64 v65, v[22:23], v[50:51] offset0:2 offset1:3
	s_waitcnt lgkmcnt(0)
	s_barrier
	ds_read2st64_b64 v[36:39], v56 offset1:4
	ds_read2st64_b64 v[44:47], v56 offset0:8 offset1:12
	ds_read2st64_b64 v[40:43], v56 offset0:16 offset1:20
	ds_read_b64 v[56:57], v56 offset:12288
                                        ; implicit-def: $vgpr14_vgpr15
                                        ; implicit-def: $vgpr18_vgpr19
                                        ; implicit-def: $vgpr22_vgpr23
	s_and_saveexec_b64 s[4:5], s[0:1]
	s_cbranch_execz .LBB0_17
; %bb.16:
	v_add_u32_e32 v12, 0x100, v68
	ds_read_b64 v[50:51], v67
	ds_read2st64_b64 v[20:23], v12 offset0:7 offset1:11
	ds_read2st64_b64 v[16:19], v12 offset0:15 offset1:19
	;; [unrolled: 1-line block ×3, first 2 shown]
.LBB0_17:
	s_or_b64 exec, exec, s[4:5]
	s_and_saveexec_b64 s[4:5], vcc
	s_cbranch_execz .LBB0_20
; %bb.18:
	v_mul_u32_u24_e32 v58, 6, v62
	v_lshlrev_b32_e32 v76, 4, v58
	v_mov_b32_e32 v68, s9
	v_add_co_u32_e32 v77, vcc, s8, v76
	v_addc_co_u32_e32 v78, vcc, 0, v68, vcc
	s_movk_i32 s28, 0x1000
	v_add_co_u32_e32 v84, vcc, s28, v77
	v_addc_co_u32_e32 v85, vcc, 0, v78, vcc
	global_load_dwordx4 v[58:61], v76, s[8:9] offset:4064
	global_load_dwordx4 v[64:67], v76, s[8:9] offset:4080
	global_load_dwordx4 v[68:71], v76, s[8:9] offset:4048
	global_load_dwordx4 v[72:75], v76, s[8:9] offset:4032
	s_nop 0
	global_load_dwordx4 v[76:79], v[84:85], off
	global_load_dwordx4 v[80:83], v[84:85], off offset:16
	v_mad_u64_u32 v[84:85], s[26:27], s2, v62, 0
	s_mov_b32 s18, 0x37e14327
	s_mov_b32 s19, 0x3fe948f6
	v_mad_u64_u32 v[85:86], s[30:31], s3, v62, v[85:86]
	s_mov_b32 s10, 0xe976ee23
	s_mov_b32 s20, 0x429ad128
	;; [unrolled: 1-line block ×18, first 2 shown]
	s_waitcnt vmcnt(5) lgkmcnt(2)
	v_mul_f64 v[86:87], v[46:47], v[60:61]
	s_waitcnt vmcnt(3)
	v_mul_f64 v[88:89], v[44:45], v[70:71]
	s_waitcnt lgkmcnt(1)
	v_mul_f64 v[90:91], v[40:41], v[66:67]
	v_mul_f64 v[60:61], v[34:35], v[60:61]
	s_waitcnt vmcnt(2)
	v_mul_f64 v[92:93], v[38:39], v[74:75]
	v_mul_f64 v[66:67], v[28:29], v[66:67]
	;; [unrolled: 1-line block ×4, first 2 shown]
	s_waitcnt vmcnt(1)
	v_mul_f64 v[94:95], v[42:43], v[78:79]
	s_waitcnt vmcnt(0) lgkmcnt(0)
	v_mul_f64 v[96:97], v[56:57], v[82:83]
	v_mul_f64 v[78:79], v[30:31], v[78:79]
	;; [unrolled: 1-line block ×3, first 2 shown]
	v_fma_f64 v[34:35], v[34:35], v[58:59], -v[86:87]
	v_fma_f64 v[32:33], v[32:33], v[68:69], -v[88:89]
	v_fma_f64 v[46:47], v[46:47], v[58:59], v[60:61]
	v_fma_f64 v[28:29], v[28:29], v[64:65], -v[90:91]
	v_fma_f64 v[40:41], v[40:41], v[64:65], v[66:67]
	v_fma_f64 v[26:27], v[26:27], v[72:73], -v[92:93]
	v_fma_f64 v[44:45], v[44:45], v[68:69], v[70:71]
	v_fma_f64 v[38:39], v[38:39], v[72:73], v[74:75]
	v_fma_f64 v[30:31], v[30:31], v[76:77], -v[94:95]
	v_fma_f64 v[54:55], v[54:55], v[80:81], -v[96:97]
	v_fma_f64 v[42:43], v[42:43], v[76:77], v[78:79]
	v_fma_f64 v[56:57], v[56:57], v[80:81], v[82:83]
	v_add_f64 v[58:59], v[28:29], -v[34:35]
	v_add_f64 v[60:61], v[40:41], v[46:47]
	v_add_f64 v[28:29], v[28:29], v[34:35]
	v_add_f64 v[34:35], v[40:41], -v[46:47]
	v_add_f64 v[40:41], v[32:33], -v[30:31]
	;; [unrolled: 1-line block ×3, first 2 shown]
	v_add_f64 v[64:65], v[44:45], v[42:43]
	v_add_f64 v[66:67], v[38:39], v[56:57]
	;; [unrolled: 1-line block ×4, first 2 shown]
	v_add_f64 v[32:33], v[44:45], -v[42:43]
	v_add_f64 v[38:39], v[38:39], -v[56:57]
	v_add_f64 v[42:43], v[58:59], v[40:41]
	v_add_f64 v[44:45], v[58:59], -v[40:41]
	v_add_f64 v[54:55], v[46:47], -v[58:59]
	v_add_f64 v[68:69], v[64:65], v[66:67]
	;; [unrolled: 3-line block ×3, first 2 shown]
	v_add_f64 v[58:59], v[66:67], -v[60:61]
	v_add_f64 v[76:77], v[34:35], v[32:33]
	v_add_f64 v[78:79], v[34:35], -v[32:33]
	v_add_f64 v[40:41], v[40:41], -v[46:47]
	;; [unrolled: 1-line block ×3, first 2 shown]
	v_add_f64 v[60:61], v[60:61], v[68:69]
	v_mul_f64 v[68:69], v[72:73], s[18:19]
	v_add_f64 v[72:73], v[28:29], v[74:75]
	v_add_f64 v[70:71], v[28:29], -v[30:31]
	v_add_f64 v[34:35], v[38:39], -v[34:35]
	;; [unrolled: 1-line block ×4, first 2 shown]
	v_mul_f64 v[44:45], v[44:45], s[10:11]
	v_mul_f64 v[58:59], v[58:59], s[18:19]
	v_add_f64 v[38:39], v[76:77], v[38:39]
	v_mul_f64 v[74:75], v[78:79], s[10:11]
	v_mul_f64 v[76:77], v[40:41], s[20:21]
	;; [unrolled: 1-line block ×3, first 2 shown]
	v_add_f64 v[28:29], v[36:37], v[60:61]
	v_add_f64 v[26:27], v[24:25], v[72:73]
	;; [unrolled: 1-line block ×3, first 2 shown]
	v_mul_f64 v[46:47], v[56:57], s[14:15]
	v_mul_f64 v[66:67], v[70:71], s[14:15]
	v_fma_f64 v[80:81], v[54:55], s[6:7], v[44:45]
	v_fma_f64 v[56:57], v[56:57], s[14:15], v[58:59]
	v_fma_f64 v[36:37], v[70:71], s[14:15], v[68:69]
	v_fma_f64 v[24:25], v[34:35], s[6:7], v[74:75]
	v_fma_f64 v[54:55], v[54:55], s[22:23], -v[76:77]
	v_fma_f64 v[58:59], v[64:65], s[24:25], -v[58:59]
	;; [unrolled: 1-line block ×5, first 2 shown]
	v_fma_f64 v[44:45], v[60:61], s[16:17], v[28:29]
	v_fma_f64 v[60:61], v[72:73], s[16:17], v[26:27]
	v_fma_f64 v[30:31], v[30:31], s[26:27], -v[66:67]
	v_fma_f64 v[54:55], v[42:43], s[4:5], v[54:55]
	v_fma_f64 v[46:47], v[64:65], s[26:27], -v[46:47]
	v_fma_f64 v[32:33], v[32:33], s[20:21], -v[74:75]
	v_fma_f64 v[66:67], v[38:39], s[4:5], v[34:35]
	v_fma_f64 v[64:65], v[42:43], s[4:5], v[80:81]
	v_add_f64 v[72:73], v[56:57], v[44:45]
	v_add_f64 v[56:57], v[58:59], v[44:45]
	;; [unrolled: 1-line block ×3, first 2 shown]
	v_fma_f64 v[24:25], v[38:39], s[4:5], v[24:25]
	v_add_f64 v[74:75], v[36:37], v[60:61]
	v_fma_f64 v[42:43], v[42:43], s[4:5], v[40:41]
	v_fma_f64 v[70:71], v[38:39], s[4:5], v[32:33]
	v_add_f64 v[44:45], v[46:47], v[44:45]
	v_add_f64 v[46:47], v[30:31], v[60:61]
	;; [unrolled: 1-line block ×3, first 2 shown]
	v_add_f64 v[56:57], v[56:57], -v[54:55]
	v_add_f64 v[54:55], v[66:67], v[58:59]
	v_mov_b32_e32 v68, s13
	v_add_f64 v[32:33], v[64:65], v[72:73]
	v_add_f64 v[30:31], v[74:75], -v[24:25]
	v_add_f64 v[34:35], v[58:59], -v[66:67]
	v_add_f64 v[60:61], v[72:73], -v[64:65]
	v_add_f64 v[58:59], v[24:25], v[74:75]
	v_add_co_u32_e32 v24, vcc, s12, v52
	v_or_b32_e32 v64, 0x100, v62
	v_addc_co_u32_e32 v25, vcc, v68, v53, vcc
	v_mad_u64_u32 v[52:53], s[12:13], s2, v64, 0
	v_or_b32_e32 v67, 0x200, v62
	v_add_f64 v[40:41], v[44:45], -v[42:43]
	v_mad_u64_u32 v[64:65], s[12:13], s3, v64, v[53:54]
	v_add_f64 v[38:39], v[70:71], v[46:47]
	v_add_f64 v[44:45], v[42:43], v[44:45]
	v_add_f64 v[42:43], v[46:47], -v[70:71]
	v_lshlrev_b64 v[46:47], 4, v[84:85]
	v_mad_u64_u32 v[65:66], s[12:13], s2, v67, 0
	v_add_co_u32_e32 v46, vcc, v24, v46
	v_addc_co_u32_e32 v47, vcc, v25, v47, vcc
	global_store_dwordx4 v[46:47], v[26:29], off
	v_or_b32_e32 v46, 0x300, v62
	v_mov_b32_e32 v28, v66
	v_mad_u64_u32 v[28:29], s[12:13], s3, v67, v[28:29]
	v_mov_b32_e32 v53, v64
	v_lshlrev_b64 v[26:27], 4, v[52:53]
	v_mov_b32_e32 v66, v28
	v_mad_u64_u32 v[28:29], s[12:13], s2, v46, 0
	v_add_co_u32_e32 v26, vcc, v24, v26
	v_mad_u64_u32 v[46:47], s[12:13], s3, v46, v[29:30]
	v_addc_co_u32_e32 v27, vcc, v25, v27, vcc
	v_or_b32_e32 v47, 0x400, v62
	global_store_dwordx4 v[26:27], v[58:61], off
	v_lshlrev_b64 v[26:27], 4, v[65:66]
	v_mad_u64_u32 v[52:53], s[12:13], s2, v47, 0
	v_add_co_u32_e32 v26, vcc, v24, v26
	v_addc_co_u32_e32 v27, vcc, v25, v27, vcc
	v_mov_b32_e32 v29, v46
	global_store_dwordx4 v[26:27], v[54:57], off
	v_lshlrev_b64 v[26:27], 4, v[28:29]
	v_mov_b32_e32 v28, v53
	v_mad_u64_u32 v[28:29], s[12:13], s3, v47, v[28:29]
	v_add_co_u32_e32 v26, vcc, v24, v26
	v_addc_co_u32_e32 v27, vcc, v25, v27, vcc
	global_store_dwordx4 v[26:27], v[42:45], off
	v_mov_b32_e32 v53, v28
	v_or_b32_e32 v42, 0x500, v62
	v_mad_u64_u32 v[28:29], s[12:13], s2, v42, 0
	v_or_b32_e32 v45, 0x600, v62
	v_lshlrev_b64 v[26:27], 4, v[52:53]
	v_mad_u64_u32 v[42:43], s[12:13], s3, v42, v[29:30]
	v_mad_u64_u32 v[43:44], s[12:13], s2, v45, 0
	v_add_co_u32_e32 v26, vcc, v24, v26
	v_addc_co_u32_e32 v27, vcc, v25, v27, vcc
	v_mov_b32_e32 v29, v42
	global_store_dwordx4 v[26:27], v[38:41], off
	v_lshlrev_b64 v[26:27], 4, v[28:29]
	v_mov_b32_e32 v28, v44
	v_mad_u64_u32 v[28:29], s[12:13], s3, v45, v[28:29]
	v_add_co_u32_e32 v26, vcc, v24, v26
	v_addc_co_u32_e32 v27, vcc, v25, v27, vcc
	v_mov_b32_e32 v44, v28
	global_store_dwordx4 v[26:27], v[34:37], off
	v_lshlrev_b64 v[26:27], 4, v[43:44]
	v_add_co_u32_e32 v26, vcc, v24, v26
	v_addc_co_u32_e32 v27, vcc, v25, v27, vcc
	global_store_dwordx4 v[26:27], v[30:33], off
	s_and_b64 exec, exec, s[0:1]
	s_cbranch_execz .LBB0_20
; %bb.19:
	v_mov_b32_e32 v26, 6
	v_mul_u32_u24_sdwa v26, v63, v26 dst_sel:DWORD dst_unused:UNUSED_PAD src0_sel:BYTE_0 src1_sel:DWORD
	v_lshlrev_b32_e32 v42, 4, v26
	v_mov_b32_e32 v34, s9
	v_add_co_u32_e32 v43, vcc, s8, v42
	v_addc_co_u32_e32 v44, vcc, 0, v34, vcc
	v_add_co_u32_e32 v46, vcc, s28, v43
	v_addc_co_u32_e32 v47, vcc, 0, v44, vcc
	global_load_dwordx4 v[26:29], v42, s[8:9] offset:4048
	global_load_dwordx4 v[30:33], v42, s[8:9] offset:4032
	;; [unrolled: 1-line block ×4, first 2 shown]
	s_nop 0
	global_load_dwordx4 v[42:45], v[46:47], off
	global_load_dwordx4 v[52:55], v[46:47], off offset:16
	v_or_b32_e32 v60, 0xe0, v62
	v_mad_u64_u32 v[46:47], s[0:1], s2, v60, 0
	v_or_b32_e32 v63, 0x1e0, v62
	v_or_b32_e32 v65, 0x2e0, v62
	v_mad_u64_u32 v[56:57], s[0:1], s2, v63, 0
	v_mad_u64_u32 v[58:59], s[0:1], s2, v65, 0
	;; [unrolled: 1-line block ×5, first 2 shown]
	v_mov_b32_e32 v47, v60
	v_mov_b32_e32 v57, v63
	;; [unrolled: 1-line block ×3, first 2 shown]
	v_lshlrev_b64 v[46:47], 4, v[46:47]
	v_lshlrev_b64 v[56:57], 4, v[56:57]
	v_or_b32_e32 v73, 0x3e0, v62
	v_lshlrev_b64 v[58:59], 4, v[58:59]
	s_waitcnt vmcnt(5)
	v_mul_f64 v[63:64], v[22:23], v[28:29]
	s_waitcnt vmcnt(4)
	v_mul_f64 v[60:61], v[20:21], v[32:33]
	v_mul_f64 v[32:33], v[8:9], v[32:33]
	;; [unrolled: 1-line block ×3, first 2 shown]
	s_waitcnt vmcnt(1)
	v_mul_f64 v[69:70], v[12:13], v[44:45]
	v_mul_f64 v[44:45], v[0:1], v[44:45]
	s_waitcnt vmcnt(0)
	v_mul_f64 v[71:72], v[14:15], v[54:55]
	v_mul_f64 v[54:55], v[2:3], v[54:55]
	;; [unrolled: 1-line block ×6, first 2 shown]
	v_fma_f64 v[8:9], v[8:9], v[30:31], -v[60:61]
	v_fma_f64 v[20:21], v[20:21], v[30:31], v[32:33]
	v_fma_f64 v[10:11], v[10:11], v[26:27], -v[63:64]
	v_fma_f64 v[22:23], v[22:23], v[26:27], v[28:29]
	;; [unrolled: 2-line block ×6, first 2 shown]
	v_add_f64 v[36:37], v[10:11], v[0:1]
	v_add_f64 v[38:39], v[22:23], v[12:13]
	;; [unrolled: 1-line block ×4, first 2 shown]
	v_add_f64 v[2:3], v[8:9], -v[2:3]
	v_add_f64 v[8:9], v[20:21], -v[14:15]
	v_add_f64 v[28:29], v[4:5], v[6:7]
	v_add_f64 v[30:31], v[16:17], v[18:19]
	v_add_f64 v[4:5], v[6:7], -v[4:5]
	v_add_f64 v[6:7], v[18:19], -v[16:17]
	;; [unrolled: 1-line block ×4, first 2 shown]
	v_add_f64 v[12:13], v[36:37], v[32:33]
	v_add_f64 v[14:15], v[38:39], v[34:35]
	v_add_f64 v[16:17], v[36:37], -v[32:33]
	v_add_f64 v[18:19], v[38:39], -v[34:35]
	;; [unrolled: 1-line block ×6, first 2 shown]
	v_add_f64 v[36:37], v[4:5], v[0:1]
	v_add_f64 v[38:39], v[6:7], v[10:11]
	v_add_f64 v[40:41], v[4:5], -v[0:1]
	v_add_f64 v[42:43], v[6:7], -v[10:11]
	v_add_f64 v[12:13], v[28:29], v[12:13]
	v_add_f64 v[14:15], v[30:31], v[14:15]
	v_add_f64 v[4:5], v[2:3], -v[4:5]
	v_add_f64 v[6:7], v[8:9], -v[6:7]
	;; [unrolled: 1-line block ×4, first 2 shown]
	v_add_f64 v[28:29], v[36:37], v[2:3]
	v_add_f64 v[8:9], v[38:39], v[8:9]
	v_mul_f64 v[20:21], v[20:21], s[18:19]
	v_mul_f64 v[22:23], v[22:23], s[18:19]
	;; [unrolled: 1-line block ×6, first 2 shown]
	v_add_f64 v[0:1], v[48:49], v[12:13]
	v_add_f64 v[2:3], v[50:51], v[14:15]
	v_add_co_u32_e32 v26, vcc, v24, v46
	v_fma_f64 v[32:33], v[32:33], s[14:15], v[20:21]
	v_fma_f64 v[34:35], v[34:35], s[14:15], v[22:23]
	v_fma_f64 v[30:31], v[16:17], s[26:27], -v[30:31]
	v_fma_f64 v[36:37], v[18:19], s[26:27], -v[36:37]
	;; [unrolled: 1-line block ×4, first 2 shown]
	v_fma_f64 v[20:21], v[4:5], s[6:7], v[38:39]
	v_fma_f64 v[22:23], v[6:7], s[6:7], v[40:41]
	;; [unrolled: 1-line block ×4, first 2 shown]
	v_addc_co_u32_e32 v27, vcc, v25, v47, vcc
	v_mul_f64 v[42:43], v[44:45], s[20:21]
	v_mul_f64 v[46:47], v[10:11], s[20:21]
	v_fma_f64 v[10:11], v[10:11], s[20:21], -v[40:41]
	v_fma_f64 v[40:41], v[28:29], s[4:5], v[20:21]
	v_fma_f64 v[20:21], v[8:9], s[4:5], v[22:23]
	v_add_f64 v[32:33], v[32:33], v[12:13]
	v_add_f64 v[34:35], v[34:35], v[14:15]
	v_fma_f64 v[38:39], v[44:45], s[20:21], -v[38:39]
	v_fma_f64 v[4:5], v[4:5], s[22:23], -v[42:43]
	;; [unrolled: 1-line block ×3, first 2 shown]
	global_store_dwordx4 v[26:27], v[0:3], off
	v_add_f64 v[16:17], v[16:17], v[12:13]
	v_add_f64 v[18:19], v[18:19], v[14:15]
	;; [unrolled: 1-line block ×3, first 2 shown]
	v_add_f64 v[2:3], v[34:35], -v[40:41]
	v_fma_f64 v[22:23], v[28:29], s[4:5], v[38:39]
	v_fma_f64 v[28:29], v[28:29], s[4:5], v[4:5]
	v_fma_f64 v[42:43], v[8:9], s[4:5], v[6:7]
	v_add_co_u32_e32 v44, vcc, v24, v56
	v_addc_co_u32_e32 v45, vcc, v25, v57, vcc
	global_store_dwordx4 v[44:45], v[0:3], off
	v_fma_f64 v[38:39], v[8:9], s[4:5], v[10:11]
	v_mad_u64_u32 v[0:1], s[0:1], s2, v73, 0
	v_add_f64 v[4:5], v[42:43], v[16:17]
	v_add_f64 v[6:7], v[18:19], -v[28:29]
	v_add_f64 v[30:31], v[30:31], v[12:13]
	v_add_f64 v[36:37], v[36:37], v[14:15]
	v_add_co_u32_e32 v2, vcc, v24, v58
	v_add_f64 v[18:19], v[28:29], v[18:19]
	v_mad_u64_u32 v[26:27], s[0:1], s3, v73, v[1:2]
	v_or_b32_e32 v29, 0x4e0, v62
	v_mad_u64_u32 v[27:28], s[0:1], s2, v29, 0
	v_addc_co_u32_e32 v3, vcc, v25, v59, vcc
	global_store_dwordx4 v[2:3], v[4:7], off
	v_mov_b32_e32 v2, v28
	v_mad_u64_u32 v[2:3], s[0:1], s3, v29, v[2:3]
	v_add_f64 v[8:9], v[30:31], -v[38:39]
	v_add_f64 v[10:11], v[22:23], v[36:37]
	v_or_b32_e32 v4, 0x5e0, v62
	v_mov_b32_e32 v1, v26
	v_mov_b32_e32 v28, v2
	v_mad_u64_u32 v[2:3], s[0:1], s2, v4, 0
	v_add_f64 v[12:13], v[38:39], v[30:31]
	v_add_f64 v[14:15], v[36:37], -v[22:23]
	v_lshlrev_b64 v[0:1], 4, v[0:1]
	v_mad_u64_u32 v[3:4], s[0:1], s3, v4, v[3:4]
	v_add_co_u32_e32 v0, vcc, v24, v0
	v_addc_co_u32_e32 v1, vcc, v25, v1, vcc
	v_or_b32_e32 v6, 0x6e0, v62
	global_store_dwordx4 v[0:1], v[8:11], off
	v_lshlrev_b64 v[0:1], 4, v[27:28]
	v_mad_u64_u32 v[4:5], s[0:1], s2, v6, 0
	v_add_f64 v[16:17], v[16:17], -v[42:43]
	v_add_co_u32_e32 v0, vcc, v24, v0
	v_addc_co_u32_e32 v1, vcc, v25, v1, vcc
	global_store_dwordx4 v[0:1], v[12:15], off
	v_lshlrev_b64 v[0:1], 4, v[2:3]
	v_mov_b32_e32 v2, v5
	v_mad_u64_u32 v[2:3], s[0:1], s3, v6, v[2:3]
	v_add_f64 v[20:21], v[32:33], -v[20:21]
	v_add_f64 v[22:23], v[40:41], v[34:35]
	v_add_co_u32_e32 v0, vcc, v24, v0
	v_addc_co_u32_e32 v1, vcc, v25, v1, vcc
	v_mov_b32_e32 v5, v2
	global_store_dwordx4 v[0:1], v[16:19], off
	v_lshlrev_b64 v[0:1], 4, v[4:5]
	v_add_co_u32_e32 v0, vcc, v24, v0
	v_addc_co_u32_e32 v1, vcc, v25, v1, vcc
	global_store_dwordx4 v[0:1], v[20:23], off
.LBB0_20:
	s_endpgm
	.section	.rodata,"a",@progbits
	.p2align	6, 0x0
	.amdhsa_kernel fft_rtc_fwd_len1792_factors_4_4_4_4_7_wgs_224_tpt_224_halfLds_dp_ip_CI_sbrr_dirReg
		.amdhsa_group_segment_fixed_size 0
		.amdhsa_private_segment_fixed_size 0
		.amdhsa_kernarg_size 88
		.amdhsa_user_sgpr_count 6
		.amdhsa_user_sgpr_private_segment_buffer 1
		.amdhsa_user_sgpr_dispatch_ptr 0
		.amdhsa_user_sgpr_queue_ptr 0
		.amdhsa_user_sgpr_kernarg_segment_ptr 1
		.amdhsa_user_sgpr_dispatch_id 0
		.amdhsa_user_sgpr_flat_scratch_init 0
		.amdhsa_user_sgpr_private_segment_size 0
		.amdhsa_uses_dynamic_stack 0
		.amdhsa_system_sgpr_private_segment_wavefront_offset 0
		.amdhsa_system_sgpr_workgroup_id_x 1
		.amdhsa_system_sgpr_workgroup_id_y 0
		.amdhsa_system_sgpr_workgroup_id_z 0
		.amdhsa_system_sgpr_workgroup_info 0
		.amdhsa_system_vgpr_workitem_id 0
		.amdhsa_next_free_vgpr 98
		.amdhsa_next_free_sgpr 32
		.amdhsa_reserve_vcc 1
		.amdhsa_reserve_flat_scratch 0
		.amdhsa_float_round_mode_32 0
		.amdhsa_float_round_mode_16_64 0
		.amdhsa_float_denorm_mode_32 3
		.amdhsa_float_denorm_mode_16_64 3
		.amdhsa_dx10_clamp 1
		.amdhsa_ieee_mode 1
		.amdhsa_fp16_overflow 0
		.amdhsa_exception_fp_ieee_invalid_op 0
		.amdhsa_exception_fp_denorm_src 0
		.amdhsa_exception_fp_ieee_div_zero 0
		.amdhsa_exception_fp_ieee_overflow 0
		.amdhsa_exception_fp_ieee_underflow 0
		.amdhsa_exception_fp_ieee_inexact 0
		.amdhsa_exception_int_div_zero 0
	.end_amdhsa_kernel
	.text
.Lfunc_end0:
	.size	fft_rtc_fwd_len1792_factors_4_4_4_4_7_wgs_224_tpt_224_halfLds_dp_ip_CI_sbrr_dirReg, .Lfunc_end0-fft_rtc_fwd_len1792_factors_4_4_4_4_7_wgs_224_tpt_224_halfLds_dp_ip_CI_sbrr_dirReg
                                        ; -- End function
	.section	.AMDGPU.csdata,"",@progbits
; Kernel info:
; codeLenInByte = 7208
; NumSgprs: 36
; NumVgprs: 98
; ScratchSize: 0
; MemoryBound: 1
; FloatMode: 240
; IeeeMode: 1
; LDSByteSize: 0 bytes/workgroup (compile time only)
; SGPRBlocks: 4
; VGPRBlocks: 24
; NumSGPRsForWavesPerEU: 36
; NumVGPRsForWavesPerEU: 98
; Occupancy: 2
; WaveLimiterHint : 1
; COMPUTE_PGM_RSRC2:SCRATCH_EN: 0
; COMPUTE_PGM_RSRC2:USER_SGPR: 6
; COMPUTE_PGM_RSRC2:TRAP_HANDLER: 0
; COMPUTE_PGM_RSRC2:TGID_X_EN: 1
; COMPUTE_PGM_RSRC2:TGID_Y_EN: 0
; COMPUTE_PGM_RSRC2:TGID_Z_EN: 0
; COMPUTE_PGM_RSRC2:TIDIG_COMP_CNT: 0
	.type	__hip_cuid_dc2a921bf3ee1697,@object ; @__hip_cuid_dc2a921bf3ee1697
	.section	.bss,"aw",@nobits
	.globl	__hip_cuid_dc2a921bf3ee1697
__hip_cuid_dc2a921bf3ee1697:
	.byte	0                               ; 0x0
	.size	__hip_cuid_dc2a921bf3ee1697, 1

	.ident	"AMD clang version 19.0.0git (https://github.com/RadeonOpenCompute/llvm-project roc-6.4.0 25133 c7fe45cf4b819c5991fe208aaa96edf142730f1d)"
	.section	".note.GNU-stack","",@progbits
	.addrsig
	.addrsig_sym __hip_cuid_dc2a921bf3ee1697
	.amdgpu_metadata
---
amdhsa.kernels:
  - .args:
      - .actual_access:  read_only
        .address_space:  global
        .offset:         0
        .size:           8
        .value_kind:     global_buffer
      - .offset:         8
        .size:           8
        .value_kind:     by_value
      - .actual_access:  read_only
        .address_space:  global
        .offset:         16
        .size:           8
        .value_kind:     global_buffer
      - .actual_access:  read_only
        .address_space:  global
        .offset:         24
        .size:           8
        .value_kind:     global_buffer
      - .offset:         32
        .size:           8
        .value_kind:     by_value
      - .actual_access:  read_only
        .address_space:  global
        .offset:         40
        .size:           8
        .value_kind:     global_buffer
      - .actual_access:  read_only
        .address_space:  global
        .offset:         48
        .size:           8
        .value_kind:     global_buffer
      - .offset:         56
        .size:           4
        .value_kind:     by_value
      - .actual_access:  read_only
        .address_space:  global
        .offset:         64
        .size:           8
        .value_kind:     global_buffer
      - .actual_access:  read_only
        .address_space:  global
        .offset:         72
        .size:           8
        .value_kind:     global_buffer
      - .address_space:  global
        .offset:         80
        .size:           8
        .value_kind:     global_buffer
    .group_segment_fixed_size: 0
    .kernarg_segment_align: 8
    .kernarg_segment_size: 88
    .language:       OpenCL C
    .language_version:
      - 2
      - 0
    .max_flat_workgroup_size: 224
    .name:           fft_rtc_fwd_len1792_factors_4_4_4_4_7_wgs_224_tpt_224_halfLds_dp_ip_CI_sbrr_dirReg
    .private_segment_fixed_size: 0
    .sgpr_count:     36
    .sgpr_spill_count: 0
    .symbol:         fft_rtc_fwd_len1792_factors_4_4_4_4_7_wgs_224_tpt_224_halfLds_dp_ip_CI_sbrr_dirReg.kd
    .uniform_work_group_size: 1
    .uses_dynamic_stack: false
    .vgpr_count:     98
    .vgpr_spill_count: 0
    .wavefront_size: 64
amdhsa.target:   amdgcn-amd-amdhsa--gfx906
amdhsa.version:
  - 1
  - 2
...

	.end_amdgpu_metadata
